;; amdgpu-corpus repo=ROCm/rocFFT kind=compiled arch=gfx906 opt=O3
	.text
	.amdgcn_target "amdgcn-amd-amdhsa--gfx906"
	.amdhsa_code_object_version 6
	.protected	fft_rtc_back_len1700_factors_17_10_10_wgs_170_tpt_170_halfLds_half_ip_CI_unitstride_sbrr_C2R_dirReg ; -- Begin function fft_rtc_back_len1700_factors_17_10_10_wgs_170_tpt_170_halfLds_half_ip_CI_unitstride_sbrr_C2R_dirReg
	.globl	fft_rtc_back_len1700_factors_17_10_10_wgs_170_tpt_170_halfLds_half_ip_CI_unitstride_sbrr_C2R_dirReg
	.p2align	8
	.type	fft_rtc_back_len1700_factors_17_10_10_wgs_170_tpt_170_halfLds_half_ip_CI_unitstride_sbrr_C2R_dirReg,@function
fft_rtc_back_len1700_factors_17_10_10_wgs_170_tpt_170_halfLds_half_ip_CI_unitstride_sbrr_C2R_dirReg: ; @fft_rtc_back_len1700_factors_17_10_10_wgs_170_tpt_170_halfLds_half_ip_CI_unitstride_sbrr_C2R_dirReg
; %bb.0:
	s_load_dwordx2 s[2:3], s[4:5], 0x50
	s_load_dwordx4 s[8:11], s[4:5], 0x0
	s_load_dwordx2 s[12:13], s[4:5], 0x18
	v_mul_u32_u24_e32 v1, 0x182, v0
	v_add_u32_sdwa v5, s6, v1 dst_sel:DWORD dst_unused:UNUSED_PAD src0_sel:DWORD src1_sel:WORD_1
	v_mov_b32_e32 v3, 0
	s_waitcnt lgkmcnt(0)
	v_cmp_lt_u64_e64 s[0:1], s[10:11], 2
	v_mov_b32_e32 v1, 0
	v_mov_b32_e32 v6, v3
	s_and_b64 vcc, exec, s[0:1]
	v_mov_b32_e32 v2, 0
	s_cbranch_vccnz .LBB0_8
; %bb.1:
	s_load_dwordx2 s[0:1], s[4:5], 0x10
	s_add_u32 s6, s12, 8
	s_addc_u32 s7, s13, 0
	v_mov_b32_e32 v1, 0
	v_mov_b32_e32 v2, 0
	s_waitcnt lgkmcnt(0)
	s_add_u32 s14, s0, 8
	s_addc_u32 s15, s1, 0
	s_mov_b64 s[16:17], 1
.LBB0_2:                                ; =>This Inner Loop Header: Depth=1
	s_load_dwordx2 s[18:19], s[14:15], 0x0
                                        ; implicit-def: $vgpr7_vgpr8
	s_waitcnt lgkmcnt(0)
	v_or_b32_e32 v4, s19, v6
	v_cmp_ne_u64_e32 vcc, 0, v[3:4]
	s_and_saveexec_b64 s[0:1], vcc
	s_xor_b64 s[20:21], exec, s[0:1]
	s_cbranch_execz .LBB0_4
; %bb.3:                                ;   in Loop: Header=BB0_2 Depth=1
	v_cvt_f32_u32_e32 v4, s18
	v_cvt_f32_u32_e32 v7, s19
	s_sub_u32 s0, 0, s18
	s_subb_u32 s1, 0, s19
	v_mac_f32_e32 v4, 0x4f800000, v7
	v_rcp_f32_e32 v4, v4
	v_mul_f32_e32 v4, 0x5f7ffffc, v4
	v_mul_f32_e32 v7, 0x2f800000, v4
	v_trunc_f32_e32 v7, v7
	v_mac_f32_e32 v4, 0xcf800000, v7
	v_cvt_u32_f32_e32 v7, v7
	v_cvt_u32_f32_e32 v4, v4
	v_mul_lo_u32 v8, s0, v7
	v_mul_hi_u32 v9, s0, v4
	v_mul_lo_u32 v11, s1, v4
	v_mul_lo_u32 v10, s0, v4
	v_add_u32_e32 v8, v9, v8
	v_add_u32_e32 v8, v8, v11
	v_mul_hi_u32 v9, v4, v10
	v_mul_lo_u32 v11, v4, v8
	v_mul_hi_u32 v13, v4, v8
	v_mul_hi_u32 v12, v7, v10
	v_mul_lo_u32 v10, v7, v10
	v_mul_hi_u32 v14, v7, v8
	v_add_co_u32_e32 v9, vcc, v9, v11
	v_addc_co_u32_e32 v11, vcc, 0, v13, vcc
	v_mul_lo_u32 v8, v7, v8
	v_add_co_u32_e32 v9, vcc, v9, v10
	v_addc_co_u32_e32 v9, vcc, v11, v12, vcc
	v_addc_co_u32_e32 v10, vcc, 0, v14, vcc
	v_add_co_u32_e32 v8, vcc, v9, v8
	v_addc_co_u32_e32 v9, vcc, 0, v10, vcc
	v_add_co_u32_e32 v4, vcc, v4, v8
	v_addc_co_u32_e32 v7, vcc, v7, v9, vcc
	v_mul_lo_u32 v8, s0, v7
	v_mul_hi_u32 v9, s0, v4
	v_mul_lo_u32 v10, s1, v4
	v_mul_lo_u32 v11, s0, v4
	v_add_u32_e32 v8, v9, v8
	v_add_u32_e32 v8, v8, v10
	v_mul_lo_u32 v12, v4, v8
	v_mul_hi_u32 v13, v4, v11
	v_mul_hi_u32 v14, v4, v8
	;; [unrolled: 1-line block ×3, first 2 shown]
	v_mul_lo_u32 v11, v7, v11
	v_mul_hi_u32 v9, v7, v8
	v_add_co_u32_e32 v12, vcc, v13, v12
	v_addc_co_u32_e32 v13, vcc, 0, v14, vcc
	v_mul_lo_u32 v8, v7, v8
	v_add_co_u32_e32 v11, vcc, v12, v11
	v_addc_co_u32_e32 v10, vcc, v13, v10, vcc
	v_addc_co_u32_e32 v9, vcc, 0, v9, vcc
	v_add_co_u32_e32 v8, vcc, v10, v8
	v_addc_co_u32_e32 v9, vcc, 0, v9, vcc
	v_add_co_u32_e32 v4, vcc, v4, v8
	v_addc_co_u32_e32 v9, vcc, v7, v9, vcc
	v_mad_u64_u32 v[7:8], s[0:1], v5, v9, 0
	v_mul_hi_u32 v10, v5, v4
	v_add_co_u32_e32 v11, vcc, v10, v7
	v_addc_co_u32_e32 v12, vcc, 0, v8, vcc
	v_mad_u64_u32 v[7:8], s[0:1], v6, v4, 0
	v_mad_u64_u32 v[9:10], s[0:1], v6, v9, 0
	v_add_co_u32_e32 v4, vcc, v11, v7
	v_addc_co_u32_e32 v4, vcc, v12, v8, vcc
	v_addc_co_u32_e32 v7, vcc, 0, v10, vcc
	v_add_co_u32_e32 v4, vcc, v4, v9
	v_addc_co_u32_e32 v9, vcc, 0, v7, vcc
	v_mul_lo_u32 v10, s19, v4
	v_mul_lo_u32 v11, s18, v9
	v_mad_u64_u32 v[7:8], s[0:1], s18, v4, 0
	v_add3_u32 v8, v8, v11, v10
	v_sub_u32_e32 v10, v6, v8
	v_mov_b32_e32 v11, s19
	v_sub_co_u32_e32 v7, vcc, v5, v7
	v_subb_co_u32_e64 v10, s[0:1], v10, v11, vcc
	v_subrev_co_u32_e64 v11, s[0:1], s18, v7
	v_subbrev_co_u32_e64 v10, s[0:1], 0, v10, s[0:1]
	v_cmp_le_u32_e64 s[0:1], s19, v10
	v_cndmask_b32_e64 v12, 0, -1, s[0:1]
	v_cmp_le_u32_e64 s[0:1], s18, v11
	v_cndmask_b32_e64 v11, 0, -1, s[0:1]
	v_cmp_eq_u32_e64 s[0:1], s19, v10
	v_cndmask_b32_e64 v10, v12, v11, s[0:1]
	v_add_co_u32_e64 v11, s[0:1], 2, v4
	v_addc_co_u32_e64 v12, s[0:1], 0, v9, s[0:1]
	v_add_co_u32_e64 v13, s[0:1], 1, v4
	v_addc_co_u32_e64 v14, s[0:1], 0, v9, s[0:1]
	v_subb_co_u32_e32 v8, vcc, v6, v8, vcc
	v_cmp_ne_u32_e64 s[0:1], 0, v10
	v_cmp_le_u32_e32 vcc, s19, v8
	v_cndmask_b32_e64 v10, v14, v12, s[0:1]
	v_cndmask_b32_e64 v12, 0, -1, vcc
	v_cmp_le_u32_e32 vcc, s18, v7
	v_cndmask_b32_e64 v7, 0, -1, vcc
	v_cmp_eq_u32_e32 vcc, s19, v8
	v_cndmask_b32_e32 v7, v12, v7, vcc
	v_cmp_ne_u32_e32 vcc, 0, v7
	v_cndmask_b32_e64 v7, v13, v11, s[0:1]
	v_cndmask_b32_e32 v8, v9, v10, vcc
	v_cndmask_b32_e32 v7, v4, v7, vcc
.LBB0_4:                                ;   in Loop: Header=BB0_2 Depth=1
	s_andn2_saveexec_b64 s[0:1], s[20:21]
	s_cbranch_execz .LBB0_6
; %bb.5:                                ;   in Loop: Header=BB0_2 Depth=1
	v_cvt_f32_u32_e32 v4, s18
	s_sub_i32 s20, 0, s18
	v_rcp_iflag_f32_e32 v4, v4
	v_mul_f32_e32 v4, 0x4f7ffffe, v4
	v_cvt_u32_f32_e32 v4, v4
	v_mul_lo_u32 v7, s20, v4
	v_mul_hi_u32 v7, v4, v7
	v_add_u32_e32 v4, v4, v7
	v_mul_hi_u32 v4, v5, v4
	v_mul_lo_u32 v7, v4, s18
	v_add_u32_e32 v8, 1, v4
	v_sub_u32_e32 v7, v5, v7
	v_subrev_u32_e32 v9, s18, v7
	v_cmp_le_u32_e32 vcc, s18, v7
	v_cndmask_b32_e32 v7, v7, v9, vcc
	v_cndmask_b32_e32 v4, v4, v8, vcc
	v_add_u32_e32 v8, 1, v4
	v_cmp_le_u32_e32 vcc, s18, v7
	v_cndmask_b32_e32 v7, v4, v8, vcc
	v_mov_b32_e32 v8, v3
.LBB0_6:                                ;   in Loop: Header=BB0_2 Depth=1
	s_or_b64 exec, exec, s[0:1]
	v_mul_lo_u32 v4, v8, s18
	v_mul_lo_u32 v11, v7, s19
	v_mad_u64_u32 v[9:10], s[0:1], v7, s18, 0
	s_load_dwordx2 s[0:1], s[6:7], 0x0
	s_add_u32 s16, s16, 1
	v_add3_u32 v4, v10, v11, v4
	v_sub_co_u32_e32 v5, vcc, v5, v9
	v_subb_co_u32_e32 v4, vcc, v6, v4, vcc
	s_waitcnt lgkmcnt(0)
	v_mul_lo_u32 v4, s0, v4
	v_mul_lo_u32 v6, s1, v5
	v_mad_u64_u32 v[1:2], s[0:1], s0, v5, v[1:2]
	s_addc_u32 s17, s17, 0
	s_add_u32 s6, s6, 8
	v_add3_u32 v2, v6, v2, v4
	v_mov_b32_e32 v4, s10
	v_mov_b32_e32 v5, s11
	s_addc_u32 s7, s7, 0
	v_cmp_ge_u64_e32 vcc, s[16:17], v[4:5]
	s_add_u32 s14, s14, 8
	s_addc_u32 s15, s15, 0
	s_cbranch_vccnz .LBB0_9
; %bb.7:                                ;   in Loop: Header=BB0_2 Depth=1
	v_mov_b32_e32 v5, v7
	v_mov_b32_e32 v6, v8
	s_branch .LBB0_2
.LBB0_8:
	v_mov_b32_e32 v8, v6
	v_mov_b32_e32 v7, v5
.LBB0_9:
	s_lshl_b64 s[0:1], s[10:11], 3
	s_add_u32 s0, s12, s0
	s_addc_u32 s1, s13, s1
	s_load_dwordx2 s[6:7], s[0:1], 0x0
	s_load_dwordx2 s[10:11], s[4:5], 0x20
	s_waitcnt lgkmcnt(0)
	v_mad_u64_u32 v[1:2], s[0:1], s6, v7, v[1:2]
	v_mul_lo_u32 v3, s6, v8
	v_mul_lo_u32 v4, s7, v7
	s_mov_b32 s0, 0x1818182
	v_mul_hi_u32 v5, v0, s0
	v_cmp_gt_u64_e64 s[0:1], s[10:11], v[7:8]
	v_add3_u32 v2, v4, v2, v3
	v_lshlrev_b64 v[2:3], 2, v[1:2]
	v_mul_u32_u24_e32 v4, 0xaa, v5
	v_sub_u32_e32 v0, v0, v4
	s_and_saveexec_b64 s[4:5], s[0:1]
	s_cbranch_execz .LBB0_13
; %bb.10:
	v_mov_b32_e32 v1, 0
	v_mov_b32_e32 v4, s3
	v_add_co_u32_e32 v5, vcc, s2, v2
	v_lshlrev_b64 v[6:7], 2, v[0:1]
	v_addc_co_u32_e32 v4, vcc, v4, v3, vcc
	v_add_co_u32_e32 v6, vcc, v5, v6
	v_addc_co_u32_e32 v7, vcc, v4, v7, vcc
	v_add_co_u32_e32 v8, vcc, 0x1000, v6
	v_addc_co_u32_e32 v9, vcc, 0, v7, vcc
	global_load_dword v10, v[6:7], off
	global_load_dword v11, v[6:7], off offset:680
	global_load_dword v12, v[6:7], off offset:1360
	;; [unrolled: 1-line block ×9, first 2 shown]
	s_movk_i32 s6, 0xa9
	v_lshl_add_u32 v6, v0, 2, 0
	v_cmp_eq_u32_e32 vcc, s6, v0
	v_add_u32_e32 v7, 0x400, v6
	v_add_u32_e32 v8, 0xa00, v6
	;; [unrolled: 1-line block ×4, first 2 shown]
	s_waitcnt vmcnt(8)
	ds_write2_b32 v6, v10, v11 offset1:170
	s_waitcnt vmcnt(6)
	ds_write2_b32 v7, v12, v13 offset0:84 offset1:254
	s_waitcnt vmcnt(4)
	ds_write2_b32 v8, v14, v15 offset0:40 offset1:210
	;; [unrolled: 2-line block ×4, first 2 shown]
	s_and_saveexec_b64 s[6:7], vcc
	s_cbranch_execz .LBB0_12
; %bb.11:
	v_add_co_u32_e32 v5, vcc, 0x1000, v5
	v_addc_co_u32_e32 v6, vcc, 0, v4, vcc
	global_load_dword v0, v[5:6], off offset:2704
	s_waitcnt vmcnt(0)
	ds_write_b32 v1, v0 offset:6800
	v_mov_b32_e32 v0, 0xa9
.LBB0_12:
	s_or_b64 exec, exec, s[6:7]
.LBB0_13:
	s_or_b64 exec, exec, s[4:5]
	v_lshlrev_b32_e32 v1, 2, v0
	v_add_u32_e32 v20, 0, v1
	s_waitcnt lgkmcnt(0)
	s_barrier
	v_sub_u32_e32 v6, 0, v1
	ds_read_u16 v9, v20
	ds_read_u16 v10, v6 offset:6800
	s_add_u32 s6, s8, 0x1a4c
	s_addc_u32 s7, s9, 0
	v_cmp_ne_u32_e32 vcc, 0, v0
                                        ; implicit-def: $vgpr4_vgpr5
	s_waitcnt lgkmcnt(0)
	v_add_f16_e32 v7, v10, v9
	v_sub_f16_e32 v8, v9, v10
	s_and_saveexec_b64 s[4:5], vcc
	s_xor_b64 s[4:5], exec, s[4:5]
	s_cbranch_execz .LBB0_15
; %bb.14:
	v_mov_b32_e32 v1, 0
	v_lshlrev_b64 v[4:5], 2, v[0:1]
	v_mov_b32_e32 v7, s7
	v_add_co_u32_e32 v4, vcc, s6, v4
	v_addc_co_u32_e32 v5, vcc, v7, v5, vcc
	global_load_dword v4, v[4:5], off
	ds_read_u16 v5, v6 offset:6802
	ds_read_u16 v7, v20 offset:2
	v_add_f16_e32 v8, v10, v9
	v_sub_f16_e32 v9, v9, v10
	s_waitcnt lgkmcnt(0)
	v_add_f16_e32 v10, v5, v7
	v_sub_f16_e32 v5, v7, v5
	s_waitcnt vmcnt(0)
	v_lshrrev_b32_e32 v7, 16, v4
	v_fma_f16 v11, v9, v7, v8
	v_fma_f16 v12, v10, v7, v5
	v_fma_f16 v13, -v9, v7, v8
	v_fma_f16 v5, v10, v7, -v5
	v_fma_f16 v7, -v4, v10, v11
	v_fma_f16 v8, v9, v4, v12
	v_fma_f16 v10, v4, v10, v13
	;; [unrolled: 1-line block ×3, first 2 shown]
	v_pack_b32_f16 v4, v10, v4
	ds_write_b32 v6, v4 offset:6800
	v_mov_b32_e32 v5, v1
	v_mov_b32_e32 v4, v0
.LBB0_15:
	s_andn2_saveexec_b64 s[4:5], s[4:5]
	s_cbranch_execz .LBB0_17
; %bb.16:
	v_mov_b32_e32 v1, 0
	ds_read_b32 v4, v1 offset:3400
	s_mov_b32 s10, 0xc0004000
	s_waitcnt lgkmcnt(0)
	v_pk_mul_f16 v9, v4, s10
	v_mov_b32_e32 v4, 0
	v_mov_b32_e32 v5, 0
	ds_write_b32 v1, v9 offset:3400
.LBB0_17:
	s_or_b64 exec, exec, s[4:5]
	v_lshlrev_b64 v[4:5], 2, v[4:5]
	v_mov_b32_e32 v1, s7
	v_add_co_u32_e32 v4, vcc, s6, v4
	v_addc_co_u32_e32 v5, vcc, v1, v5, vcc
	global_load_dword v1, v[4:5], off offset:680
	global_load_dword v9, v[4:5], off offset:1360
	;; [unrolled: 1-line block ×4, first 2 shown]
	s_mov_b32 s4, 0x5040100
	v_perm_b32 v4, v8, v7, s4
	ds_write_b32 v20, v4
	ds_read_b32 v4, v20 offset:680
	ds_read_b32 v5, v6 offset:6120
	v_add_u32_e32 v15, 0xc00, v20
	v_add_u32_e32 v22, 0x1200, v20
	;; [unrolled: 1-line block ×3, first 2 shown]
	s_movk_i32 s4, 0x64
	s_waitcnt lgkmcnt(0)
	v_add_f16_e32 v7, v4, v5
	v_add_f16_sdwa v8, v5, v4 dst_sel:DWORD dst_unused:UNUSED_PAD src0_sel:WORD_1 src1_sel:WORD_1
	v_sub_f16_e32 v12, v4, v5
	v_sub_f16_sdwa v4, v4, v5 dst_sel:DWORD dst_unused:UNUSED_PAD src0_sel:WORD_1 src1_sel:WORD_1
	v_cmp_gt_u32_e32 vcc, s4, v0
	s_waitcnt vmcnt(3)
	v_lshrrev_b32_e32 v5, 16, v1
	v_fma_f16 v13, v12, v5, v7
	v_fma_f16 v14, v8, v5, v4
	v_fma_f16 v7, -v12, v5, v7
	v_fma_f16 v4, v8, v5, -v4
	v_fma_f16 v5, -v1, v8, v13
	v_fma_f16 v13, v12, v1, v14
	v_fma_f16 v7, v1, v8, v7
	;; [unrolled: 1-line block ×3, first 2 shown]
	v_pack_b32_f16 v4, v5, v13
	v_pack_b32_f16 v1, v7, v1
	ds_write_b32 v20, v4 offset:680
	ds_write_b32 v6, v1 offset:6120
	ds_read_b32 v1, v20 offset:1360
	ds_read_b32 v4, v6 offset:5440
	s_waitcnt vmcnt(2)
	v_lshrrev_b32_e32 v5, 16, v9
	v_add_u32_e32 v7, 0x200, v20
	s_waitcnt lgkmcnt(0)
	v_add_f16_e32 v8, v1, v4
	v_add_f16_sdwa v12, v4, v1 dst_sel:DWORD dst_unused:UNUSED_PAD src0_sel:WORD_1 src1_sel:WORD_1
	v_sub_f16_e32 v13, v1, v4
	v_sub_f16_sdwa v1, v1, v4 dst_sel:DWORD dst_unused:UNUSED_PAD src0_sel:WORD_1 src1_sel:WORD_1
	v_fma_f16 v4, v13, v5, v8
	v_fma_f16 v14, v12, v5, v1
	v_fma_f16 v8, -v13, v5, v8
	v_fma_f16 v1, v12, v5, -v1
	v_fma_f16 v4, -v9, v12, v4
	v_fma_f16 v5, v13, v9, v14
	v_fma_f16 v8, v9, v12, v8
	v_fma_f16 v1, v13, v9, v1
	v_pack_b32_f16 v4, v4, v5
	v_pack_b32_f16 v1, v8, v1
	ds_write_b32 v20, v4 offset:1360
	ds_write_b32 v6, v1 offset:5440
	ds_read_b32 v4, v20 offset:2040
	ds_read_b32 v5, v6 offset:4760
	s_waitcnt vmcnt(1)
	v_lshrrev_b32_e32 v8, 16, v10
	v_add_u32_e32 v14, 0x800, v20
	v_add_u32_e32 v1, 0x400, v20
	s_waitcnt lgkmcnt(0)
	v_add_f16_e32 v9, v4, v5
	v_add_f16_sdwa v12, v5, v4 dst_sel:DWORD dst_unused:UNUSED_PAD src0_sel:WORD_1 src1_sel:WORD_1
	v_sub_f16_e32 v13, v4, v5
	v_sub_f16_sdwa v4, v4, v5 dst_sel:DWORD dst_unused:UNUSED_PAD src0_sel:WORD_1 src1_sel:WORD_1
	v_fma_f16 v5, v13, v8, v9
	v_fma_f16 v16, v12, v8, v4
	v_fma_f16 v9, -v13, v8, v9
	v_fma_f16 v4, v12, v8, -v4
	v_fma_f16 v5, -v10, v12, v5
	v_fma_f16 v8, v13, v10, v16
	v_fma_f16 v9, v10, v12, v9
	;; [unrolled: 1-line block ×3, first 2 shown]
	v_pack_b32_f16 v5, v5, v8
	v_pack_b32_f16 v4, v9, v4
	ds_write_b32 v20, v5 offset:2040
	ds_write_b32 v6, v4 offset:4760
	ds_read_b32 v4, v20 offset:2720
	ds_read_b32 v5, v6 offset:4080
	s_waitcnt vmcnt(0)
	v_lshrrev_b32_e32 v8, 16, v11
	v_add_u32_e32 v10, 0xe00, v20
	s_waitcnt lgkmcnt(0)
	v_add_f16_e32 v9, v4, v5
	v_add_f16_sdwa v12, v5, v4 dst_sel:DWORD dst_unused:UNUSED_PAD src0_sel:WORD_1 src1_sel:WORD_1
	v_sub_f16_e32 v13, v4, v5
	v_sub_f16_sdwa v4, v4, v5 dst_sel:DWORD dst_unused:UNUSED_PAD src0_sel:WORD_1 src1_sel:WORD_1
	v_fma_f16 v5, v13, v8, v9
	v_fma_f16 v16, v12, v8, v4
	v_fma_f16 v9, -v13, v8, v9
	v_fma_f16 v4, v12, v8, -v4
	v_fma_f16 v5, -v11, v12, v5
	v_fma_f16 v8, v13, v11, v16
	v_fma_f16 v9, v11, v12, v9
	v_fma_f16 v4, v13, v11, v4
	v_pack_b32_f16 v5, v5, v8
	v_pack_b32_f16 v4, v9, v4
	ds_write_b32 v20, v5 offset:2720
	ds_write_b32 v6, v4 offset:4080
	s_waitcnt lgkmcnt(0)
	s_barrier
	s_barrier
	ds_read2_b32 v[4:5], v20 offset1:100
	ds_read2_b32 v[8:9], v7 offset0:72 offset1:172
	ds_read2_b32 v[12:13], v1 offset0:144 offset1:244
	;; [unrolled: 1-line block ×6, first 2 shown]
	ds_read_b32 v25, v20 offset:6400
	ds_read2_b32 v[10:11], v21 offset0:120 offset1:220
	s_waitcnt lgkmcnt(0)
	s_barrier
	s_and_saveexec_b64 s[4:5], vcc
	s_cbranch_execz .LBB0_19
; %bb.18:
	v_pk_add_f16 v22, v4, v5
	v_pk_add_f16 v22, v22, v8
	;; [unrolled: 1-line block ×10, first 2 shown]
	v_pk_add_f16 v23, v18, v17 neg_lo:[0,1] neg_hi:[0,1]
	v_pk_add_f16 v18, v16, v19
	v_pk_add_f16 v19, v19, v16 neg_lo:[0,1] neg_hi:[0,1]
	v_pk_add_f16 v16, v24, v16
	v_pk_add_f16 v26, v16, v17
	;; [unrolled: 1-line block ×3, first 2 shown]
	v_pk_add_f16 v17, v12, v15 neg_lo:[0,1] neg_hi:[0,1]
	v_pk_add_f16 v12, v14, v13
	v_pk_add_f16 v24, v13, v14 neg_lo:[0,1] neg_hi:[0,1]
	v_pk_add_f16 v13, v26, v14
	v_pk_add_f16 v26, v13, v15
	;; [unrolled: 1-line block ×3, first 2 shown]
	v_pk_add_f16 v15, v8, v11 neg_lo:[0,1] neg_hi:[0,1]
	v_pk_add_f16 v8, v26, v10
	v_pk_add_f16 v13, v10, v9
	v_pk_add_f16 v9, v9, v10 neg_lo:[0,1] neg_hi:[0,1]
	v_pk_add_f16 v10, v8, v11
	v_pk_add_f16 v8, v7, v6
	v_pk_add_f16 v7, v6, v7 neg_lo:[0,1] neg_hi:[0,1]
	v_pk_add_f16 v6, v25, v5
	v_pk_add_f16 v5, v5, v25 neg_lo:[0,1] neg_hi:[0,1]
	s_mov_b32 s11, 0xb5c8
	s_movk_i32 s6, 0x3b76
	v_pk_mul_f16 v11, v5, s11 op_sel_hi:[1,0]
	v_pk_add_f16 v40, v10, v25
	s_mov_b32 s10, 0xb964
	v_pk_fma_f16 v10, v6, s6, v11 op_sel:[0,0,1] op_sel_hi:[1,0,0]
	v_pk_fma_f16 v11, v6, s6, v11 op_sel:[0,0,1] op_sel_hi:[1,0,0] neg_lo:[0,0,1] neg_hi:[0,0,1]
	s_mov_b32 s12, 0xffff
	s_movk_i32 s7, 0x39e9
	v_bfi_b32 v25, s12, v10, v11
	v_pk_mul_f16 v26, v15, s10 op_sel_hi:[1,0]
	v_pk_add_f16 v27, v4, v25
	v_pk_fma_f16 v25, v14, s7, v26 op_sel:[0,0,1] op_sel_hi:[1,0,0]
	v_pk_fma_f16 v26, v14, s7, v26 op_sel:[0,0,1] op_sel_hi:[1,0,0] neg_lo:[0,0,1] neg_hi:[0,0,1]
	v_bfi_b32 v28, s12, v25, v26
	s_mov_b32 s22, 0xbb29
	v_pk_add_f16 v29, v28, v27
	s_movk_i32 s13, 0x3722
	v_pk_mul_f16 v28, v9, s22 op_sel_hi:[1,0]
	v_pk_fma_f16 v27, v13, s13, v28 op_sel:[0,0,1] op_sel_hi:[1,0,0]
	v_pk_fma_f16 v28, v13, s13, v28 op_sel:[0,0,1] op_sel_hi:[1,0,0] neg_lo:[0,0,1] neg_hi:[0,0,1]
	v_bfi_b32 v30, s12, v27, v28
	s_mov_b32 s18, 0xbbf7
	v_pk_add_f16 v31, v30, v29
	s_movk_i32 s15, 0x2de8
	v_pk_mul_f16 v30, v17, s18 op_sel_hi:[1,0]
	v_pk_fma_f16 v29, v16, s15, v30 op_sel:[0,0,1] op_sel_hi:[1,0,0]
	v_pk_fma_f16 v30, v16, s15, v30 op_sel:[0,0,1] op_sel_hi:[1,0,0] neg_lo:[0,0,1] neg_hi:[0,0,1]
	v_bfi_b32 v32, s12, v29, v30
	s_mov_b32 s24, 0xbbb2
	v_pk_add_f16 v33, v32, v31
	s_mov_b32 s14, 0xb461
	v_pk_mul_f16 v32, v24, s24 op_sel_hi:[1,0]
	v_pk_fma_f16 v31, v12, s14, v32 op_sel:[0,0,1] op_sel_hi:[1,0,0]
	v_pk_fma_f16 v32, v12, s14, v32 op_sel:[0,0,1] op_sel_hi:[1,0,0] neg_lo:[0,0,1] neg_hi:[0,0,1]
	v_bfi_b32 v34, s12, v31, v32
	s_mov_b32 s20, 0xba62
	v_pk_add_f16 v35, v34, v33
	s_mov_b32 s16, 0xb8d2
	;; [unrolled: 7-line block ×4, first 2 shown]
	v_pk_mul_f16 v38, v7, s21 op_sel_hi:[1,0]
	v_pk_fma_f16 v37, v8, s19, v38 op_sel:[0,0,1] op_sel_hi:[1,0,0]
	v_pk_fma_f16 v38, v8, s19, v38 op_sel:[0,0,1] op_sel_hi:[1,0,0] neg_lo:[0,0,1] neg_hi:[0,0,1]
	v_bfi_b32 v41, s12, v37, v38
	v_pk_add_f16 v41, v41, v39
	v_lshl_add_u32 v39, v0, 6, v20
	ds_write2_b32 v39, v40, v41 offset1:1
	s_movk_i32 s25, 0x3b29
	v_mul_f16_sdwa v40, v6, s13 dst_sel:DWORD dst_unused:UNUSED_PAD src0_sel:WORD_1 src1_sel:DWORD
	s_movk_i32 s29, 0x3a62
	v_fma_f16 v41, v5, s25, v40
	v_mul_f16_sdwa v42, v14, s16 dst_sel:DWORD dst_unused:UNUSED_PAD src0_sel:WORD_1 src1_sel:DWORD
	v_add_f16_sdwa v41, v4, v41 dst_sel:DWORD dst_unused:UNUSED_PAD src0_sel:WORD_1 src1_sel:DWORD
	v_fma_f16 v43, v15, s29, v42
	v_add_f16_e32 v41, v43, v41
	v_mul_f16_sdwa v43, v13, s19 dst_sel:DWORD dst_unused:UNUSED_PAD src0_sel:WORD_1 src1_sel:DWORD
	v_fma_f16 v44, v9, s21, v43
	v_add_f16_e32 v41, v44, v41
	v_mul_f16_sdwa v44, v16, s14 dst_sel:DWORD dst_unused:UNUSED_PAD src0_sel:WORD_1 src1_sel:DWORD
	;; [unrolled: 3-line block ×3, first 2 shown]
	v_fma_f16 v46, v24, s10, v45
	v_add_f16_e32 v41, v46, v41
	s_movk_i32 s26, 0x35c8
	v_mul_f16_sdwa v46, v22, s6 dst_sel:DWORD dst_unused:UNUSED_PAD src0_sel:WORD_1 src1_sel:DWORD
	v_fma_f16 v47, v23, s26, v46
	v_add_f16_e32 v41, v47, v41
	s_movk_i32 s33, 0x3bf7
	v_mul_f16_sdwa v47, v18, s15 dst_sel:DWORD dst_unused:UNUSED_PAD src0_sel:WORD_1 src1_sel:DWORD
	;; [unrolled: 4-line block ×3, first 2 shown]
	v_fma_f16 v49, v7, s27, v48
	v_add_f16_e32 v41, v49, v41
	v_mul_f16_sdwa v49, v5, s22 dst_sel:DWORD dst_unused:UNUSED_PAD src0_sel:WORD_1 src1_sel:DWORD
	v_fma_f16 v50, v6, s13, v49
	v_mul_f16_sdwa v51, v15, s20 dst_sel:DWORD dst_unused:UNUSED_PAD src0_sel:WORD_1 src1_sel:DWORD
	v_add_f16_e32 v50, v4, v50
	v_fma_f16 v52, v14, s16, v51
	s_movk_i32 s30, 0x31e1
	v_add_f16_e32 v50, v52, v50
	v_mul_f16_sdwa v52, v9, s30 dst_sel:DWORD dst_unused:UNUSED_PAD src0_sel:WORD_1 src1_sel:DWORD
	v_fma_f16 v53, v13, s19, v52
	s_movk_i32 s28, 0x3bb2
	v_add_f16_e32 v50, v53, v50
	v_mul_f16_sdwa v53, v17, s28 dst_sel:DWORD dst_unused:UNUSED_PAD src0_sel:WORD_1 src1_sel:DWORD
	;; [unrolled: 4-line block ×3, first 2 shown]
	v_fma_f16 v55, v12, s7, v54
	v_add_f16_e32 v50, v55, v50
	v_mul_f16_sdwa v55, v23, s11 dst_sel:DWORD dst_unused:UNUSED_PAD src0_sel:WORD_1 src1_sel:DWORD
	v_fma_f16 v56, v22, s6, v55
	v_add_f16_e32 v50, v56, v50
	v_mul_f16_sdwa v56, v19, s18 dst_sel:DWORD dst_unused:UNUSED_PAD src0_sel:WORD_1 src1_sel:DWORD
	;; [unrolled: 3-line block ×4, first 2 shown]
	v_fma_f16 v59, v5, s31, v58
	v_mul_f16_sdwa v60, v14, s15 dst_sel:DWORD dst_unused:UNUSED_PAD src0_sel:WORD_1 src1_sel:DWORD
	v_add_f16_sdwa v59, v4, v59 dst_sel:DWORD dst_unused:UNUSED_PAD src0_sel:WORD_1 src1_sel:DWORD
	v_fma_f16 v61, v15, s33, v60
	v_add_f16_e32 v59, v61, v59
	v_mul_f16_sdwa v61, v13, s16 dst_sel:DWORD dst_unused:UNUSED_PAD src0_sel:WORD_1 src1_sel:DWORD
	v_fma_f16 v62, v9, s29, v61
	v_add_f16_e32 v59, v62, v59
	v_mul_f16_sdwa v62, v16, s19 dst_sel:DWORD dst_unused:UNUSED_PAD src0_sel:WORD_1 src1_sel:DWORD
	v_fma_f16 v63, v17, s30, v62
	v_add_f16_e32 v59, v63, v59
	v_mul_f16_sdwa v63, v12, s17 dst_sel:DWORD dst_unused:UNUSED_PAD src0_sel:WORD_1 src1_sel:DWORD
	v_fma_f16 v64, v24, s23, v63
	v_add_f16_e32 v59, v64, v59
	v_mul_f16_sdwa v64, v22, s14 dst_sel:DWORD dst_unused:UNUSED_PAD src0_sel:WORD_1 src1_sel:DWORD
	v_fma_f16 v65, v23, s24, v64
	v_add_f16_e32 v59, v65, v59
	v_mul_f16_sdwa v65, v18, s13 dst_sel:DWORD dst_unused:UNUSED_PAD src0_sel:WORD_1 src1_sel:DWORD
	v_fma_f16 v66, v19, s22, v65
	v_add_f16_e32 v59, v66, v59
	v_mul_f16_sdwa v66, v8, s6 dst_sel:DWORD dst_unused:UNUSED_PAD src0_sel:WORD_1 src1_sel:DWORD
	v_fma_f16 v67, v7, s11, v66
	v_add_f16_e32 v59, v67, v59
	v_mul_f16_sdwa v67, v5, s10 dst_sel:DWORD dst_unused:UNUSED_PAD src0_sel:WORD_1 src1_sel:DWORD
	v_fma_f16 v68, v6, s7, v67
	v_mul_f16_sdwa v69, v15, s18 dst_sel:DWORD dst_unused:UNUSED_PAD src0_sel:WORD_1 src1_sel:DWORD
	v_add_f16_e32 v68, v4, v68
	v_fma_f16 v70, v14, s15, v69
	v_add_f16_e32 v68, v70, v68
	v_mul_f16_sdwa v70, v9, s20 dst_sel:DWORD dst_unused:UNUSED_PAD src0_sel:WORD_1 src1_sel:DWORD
	v_fma_f16 v71, v13, s16, v70
	v_add_f16_e32 v68, v71, v68
	v_mul_f16_sdwa v71, v17, s21 dst_sel:DWORD dst_unused:UNUSED_PAD src0_sel:WORD_1 src1_sel:DWORD
	v_fma_f16 v72, v16, s19, v71
	v_add_f16_e32 v68, v72, v68
	v_mul_f16_sdwa v72, v24, s27 dst_sel:DWORD dst_unused:UNUSED_PAD src0_sel:WORD_1 src1_sel:DWORD
	v_fma_f16 v73, v12, s17, v72
	v_add_f16_e32 v68, v73, v68
	v_mul_f16_sdwa v73, v23, s28 dst_sel:DWORD dst_unused:UNUSED_PAD src0_sel:WORD_1 src1_sel:DWORD
	v_fma_f16 v74, v22, s14, v73
	v_add_f16_e32 v68, v74, v68
	v_mul_f16_sdwa v74, v19, s25 dst_sel:DWORD dst_unused:UNUSED_PAD src0_sel:WORD_1 src1_sel:DWORD
	v_fma_f16 v75, v18, s13, v74
	v_add_f16_e32 v68, v75, v68
	v_mul_f16_sdwa v75, v7, s26 dst_sel:DWORD dst_unused:UNUSED_PAD src0_sel:WORD_1 src1_sel:DWORD
	v_fma_f16 v76, v8, s6, v75
	v_add_f16_e32 v68, v76, v68
	v_pack_b32_f16 v41, v50, v41
	v_pack_b32_f16 v50, v68, v59
	ds_write2_b32 v39, v50, v41 offset0:2 offset1:3
	v_mul_f16_sdwa v41, v6, s14 dst_sel:DWORD dst_unused:UNUSED_PAD src0_sel:WORD_1 src1_sel:DWORD
	v_fma_f16 v50, v5, s28, v41
	v_mul_f16_sdwa v59, v14, s17 dst_sel:DWORD dst_unused:UNUSED_PAD src0_sel:WORD_1 src1_sel:DWORD
	v_add_f16_sdwa v50, v4, v50 dst_sel:DWORD dst_unused:UNUSED_PAD src0_sel:WORD_1 src1_sel:DWORD
	v_fma_f16 v68, v15, s23, v59
	v_add_f16_e32 v50, v68, v50
	v_mul_f16_sdwa v68, v13, s7 dst_sel:DWORD dst_unused:UNUSED_PAD src0_sel:WORD_1 src1_sel:DWORD
	v_fma_f16 v76, v9, s10, v68
	v_add_f16_e32 v50, v76, v50
	v_mul_f16_sdwa v76, v16, s13 dst_sel:DWORD dst_unused:UNUSED_PAD src0_sel:WORD_1 src1_sel:DWORD
	;; [unrolled: 3-line block ×7, first 2 shown]
	v_fma_f16 v82, v6, s14, v81
	v_mul_f16_sdwa v83, v15, s27 dst_sel:DWORD dst_unused:UNUSED_PAD src0_sel:WORD_1 src1_sel:DWORD
	v_add_f16_e32 v82, v4, v82
	v_fma_f16 v84, v14, s17, v83
	v_add_f16_e32 v82, v84, v82
	v_mul_f16_sdwa v84, v9, s31 dst_sel:DWORD dst_unused:UNUSED_PAD src0_sel:WORD_1 src1_sel:DWORD
	v_fma_f16 v85, v13, s7, v84
	v_add_f16_e32 v82, v85, v82
	v_mul_f16_sdwa v85, v17, s22 dst_sel:DWORD dst_unused:UNUSED_PAD src0_sel:WORD_1 src1_sel:DWORD
	;; [unrolled: 3-line block ×7, first 2 shown]
	v_fma_f16 v91, v5, s33, v90
	v_mul_f16_sdwa v92, v14, s19 dst_sel:DWORD dst_unused:UNUSED_PAD src0_sel:WORD_1 src1_sel:DWORD
	v_add_f16_sdwa v91, v4, v91 dst_sel:DWORD dst_unused:UNUSED_PAD src0_sel:WORD_1 src1_sel:DWORD
	v_fma_f16 v93, v15, s30, v92
	v_add_f16_e32 v91, v93, v91
	v_mul_f16_sdwa v93, v13, s14 dst_sel:DWORD dst_unused:UNUSED_PAD src0_sel:WORD_1 src1_sel:DWORD
	v_fma_f16 v94, v9, s24, v93
	v_add_f16_e32 v91, v94, v91
	v_mul_f16_sdwa v94, v16, s6 dst_sel:DWORD dst_unused:UNUSED_PAD src0_sel:WORD_1 src1_sel:DWORD
	;; [unrolled: 3-line block ×7, first 2 shown]
	v_fma_f16 v100, v6, s15, v99
	v_mul_f16_sdwa v101, v15, s21 dst_sel:DWORD dst_unused:UNUSED_PAD src0_sel:WORD_1 src1_sel:DWORD
	v_add_f16_e32 v100, v4, v100
	v_fma_f16 v102, v14, s19, v101
	v_add_f16_e32 v100, v102, v100
	v_mul_f16_sdwa v102, v9, s28 dst_sel:DWORD dst_unused:UNUSED_PAD src0_sel:WORD_1 src1_sel:DWORD
	v_fma_f16 v103, v13, s14, v102
	v_add_f16_e32 v100, v103, v100
	v_mul_f16_sdwa v103, v17, s26 dst_sel:DWORD dst_unused:UNUSED_PAD src0_sel:WORD_1 src1_sel:DWORD
	v_fma_f16 v104, v16, s6, v103
	v_add_f16_e32 v100, v104, v100
	v_mul_f16_sdwa v104, v24, s22 dst_sel:DWORD dst_unused:UNUSED_PAD src0_sel:WORD_1 src1_sel:DWORD
	v_fma_f16 v105, v12, s13, v104
	v_add_f16_e32 v100, v105, v100
	v_mul_f16_sdwa v105, v23, s23 dst_sel:DWORD dst_unused:UNUSED_PAD src0_sel:WORD_1 src1_sel:DWORD
	v_fma_f16 v106, v22, s17, v105
	v_add_f16_e32 v100, v106, v100
	v_mul_f16_sdwa v106, v19, s29 dst_sel:DWORD dst_unused:UNUSED_PAD src0_sel:WORD_1 src1_sel:DWORD
	v_fma_f16 v107, v18, s16, v106
	v_add_f16_e32 v100, v107, v100
	v_mul_f16_sdwa v107, v7, s31 dst_sel:DWORD dst_unused:UNUSED_PAD src0_sel:WORD_1 src1_sel:DWORD
	v_fma_f16 v108, v8, s7, v107
	v_add_f16_e32 v100, v108, v100
	v_pack_b32_f16 v50, v82, v50
	v_pack_b32_f16 v82, v100, v91
	ds_write2_b32 v39, v82, v50 offset0:4 offset1:5
	v_mul_f16_sdwa v50, v6, s17 dst_sel:DWORD dst_unused:UNUSED_PAD src0_sel:WORD_1 src1_sel:DWORD
	v_fma_f16 v82, v5, s27, v50
	v_mul_f16_sdwa v91, v14, s13 dst_sel:DWORD dst_unused:UNUSED_PAD src0_sel:WORD_1 src1_sel:DWORD
	v_add_f16_sdwa v82, v4, v82 dst_sel:DWORD dst_unused:UNUSED_PAD src0_sel:WORD_1 src1_sel:DWORD
	v_fma_f16 v100, v15, s22, v91
	v_add_f16_e32 v82, v100, v82
	v_mul_f16_sdwa v100, v13, s15 dst_sel:DWORD dst_unused:UNUSED_PAD src0_sel:WORD_1 src1_sel:DWORD
	v_fma_f16 v108, v9, s33, v100
	v_add_f16_e32 v82, v108, v82
	v_mul_f16_sdwa v108, v16, s16 dst_sel:DWORD dst_unused:UNUSED_PAD src0_sel:WORD_1 src1_sel:DWORD
	;; [unrolled: 3-line block ×7, first 2 shown]
	v_fma_f16 v114, v6, s17, v113
	v_mul_f16_sdwa v115, v15, s25 dst_sel:DWORD dst_unused:UNUSED_PAD src0_sel:WORD_1 src1_sel:DWORD
	v_add_f16_e32 v114, v4, v114
	v_fma_f16 v116, v14, s13, v115
	v_add_f16_e32 v114, v116, v114
	v_mul_f16_sdwa v116, v9, s18 dst_sel:DWORD dst_unused:UNUSED_PAD src0_sel:WORD_1 src1_sel:DWORD
	v_fma_f16 v117, v13, s15, v116
	v_add_f16_e32 v114, v117, v114
	v_mul_f16_sdwa v117, v17, s29 dst_sel:DWORD dst_unused:UNUSED_PAD src0_sel:WORD_1 src1_sel:DWORD
	;; [unrolled: 3-line block ×7, first 2 shown]
	v_fma_f16 v123, v5, s29, v122
	v_mul_f16_sdwa v124, v14, s14 dst_sel:DWORD dst_unused:UNUSED_PAD src0_sel:WORD_1 src1_sel:DWORD
	v_add_f16_sdwa v123, v4, v123 dst_sel:DWORD dst_unused:UNUSED_PAD src0_sel:WORD_1 src1_sel:DWORD
	v_fma_f16 v125, v15, s24, v124
	v_add_f16_e32 v123, v125, v123
	v_mul_f16_sdwa v125, v13, s6 dst_sel:DWORD dst_unused:UNUSED_PAD src0_sel:WORD_1 src1_sel:DWORD
	v_fma_f16 v126, v9, s26, v125
	v_add_f16_e32 v123, v126, v123
	v_mul_f16_sdwa v126, v16, s17 dst_sel:DWORD dst_unused:UNUSED_PAD src0_sel:WORD_1 src1_sel:DWORD
	;; [unrolled: 3-line block ×7, first 2 shown]
	v_fma_f16 v132, v6, s16, v131
	v_mul_f16_sdwa v133, v15, s28 dst_sel:DWORD dst_unused:UNUSED_PAD src0_sel:WORD_1 src1_sel:DWORD
	v_add_f16_e32 v132, v4, v132
	v_fma_f16 v134, v14, s14, v133
	v_add_f16_e32 v132, v134, v132
	v_mul_f16_sdwa v134, v9, s11 dst_sel:DWORD dst_unused:UNUSED_PAD src0_sel:WORD_1 src1_sel:DWORD
	v_fma_f16 v135, v13, s6, v134
	v_add_f16_e32 v132, v135, v132
	v_mul_f16_sdwa v135, v17, s23 dst_sel:DWORD dst_unused:UNUSED_PAD src0_sel:WORD_1 src1_sel:DWORD
	;; [unrolled: 3-line block ×6, first 2 shown]
	v_fma_f16 v140, v8, s13, v139
	v_add_f16_e32 v132, v140, v132
	v_pack_b32_f16 v82, v114, v82
	v_pack_b32_f16 v114, v132, v123
	ds_write2_b32 v39, v114, v82 offset0:6 offset1:7
	v_pk_mul_f16 v82, v6, s19 op_sel_hi:[1,0]
	v_pk_fma_f16 v114, v5, s21, v82 op_sel:[0,0,1] op_sel_hi:[1,0,0]
	v_pk_mul_f16 v132, v14, s6 op_sel_hi:[1,0]
	v_alignbit_b32 v123, s0, v114, 16
	v_pk_fma_f16 v140, v15, s26, v132 op_sel:[0,0,1] op_sel_hi:[1,0,0]
	v_pk_add_f16 v123, v4, v123
	v_alignbit_b32 v141, s0, v140, 16
	v_pk_add_f16 v123, v141, v123
	v_pk_mul_f16 v141, v13, s17 op_sel_hi:[1,0]
	v_pk_fma_f16 v142, v9, s23, v141 op_sel:[0,0,1] op_sel_hi:[1,0,0]
	v_alignbit_b32 v143, s0, v142, 16
	v_pk_add_f16 v123, v143, v123
	v_pk_mul_f16 v143, v16, s7 op_sel_hi:[1,0]
	v_pk_fma_f16 v144, v17, s31, v143 op_sel:[0,0,1] op_sel_hi:[1,0,0]
	;; [unrolled: 4-line block ×6, first 2 shown]
	v_alignbit_b32 v153, s0, v152, 16
	v_pk_add_f16 v123, v153, v123
	v_alignbit_b32 v153, s0, v4, 16
	v_pk_fma_f16 v82, v5, s21, v82 op_sel:[0,0,1] op_sel_hi:[1,0,0] neg_lo:[1,0,0] neg_hi:[1,0,0]
	v_pk_add_f16 v114, v153, v114
	v_pk_add_f16 v82, v4, v82 op_sel:[1,0] op_sel_hi:[0,1]
	v_pk_fma_f16 v132, v15, s26, v132 op_sel:[0,0,1] op_sel_hi:[1,0,0] neg_lo:[1,0,0] neg_hi:[1,0,0]
	v_pk_add_f16 v114, v140, v114
	v_pk_add_f16 v82, v132, v82
	v_pk_fma_f16 v132, v9, s23, v141 op_sel:[0,0,1] op_sel_hi:[1,0,0] neg_lo:[1,0,0] neg_hi:[1,0,0]
	v_pk_add_f16 v114, v142, v114
	v_pk_add_f16 v82, v132, v82
	;; [unrolled: 3-line block ×7, first 2 shown]
	v_alignbit_b32 v114, v114, v82, 16
	v_pack_b32_f16 v82, v123, v82
	v_fma_f16 v50, v5, s23, v50
	ds_write2_b32 v39, v82, v114 offset0:8 offset1:9
	v_add_f16_sdwa v50, v4, v50 dst_sel:DWORD dst_unused:UNUSED_PAD src0_sel:WORD_1 src1_sel:DWORD
	v_fma_f16 v82, v15, s25, v91
	v_add_f16_e32 v50, v82, v50
	v_fma_f16 v82, v9, s18, v100
	v_add_f16_e32 v50, v82, v50
	;; [unrolled: 2-line block ×7, first 2 shown]
	v_fma_f16 v82, v6, s17, -v113
	v_add_f16_e32 v82, v4, v82
	v_fma_f16 v91, v14, s13, -v115
	v_add_f16_e32 v82, v91, v82
	;; [unrolled: 2-line block ×8, first 2 shown]
	v_fma_f16 v91, v5, s20, v122
	v_add_f16_sdwa v91, v4, v91 dst_sel:DWORD dst_unused:UNUSED_PAD src0_sel:WORD_1 src1_sel:DWORD
	v_fma_f16 v100, v15, s28, v124
	v_add_f16_e32 v91, v100, v91
	v_fma_f16 v100, v9, s11, v125
	v_add_f16_e32 v91, v100, v91
	;; [unrolled: 2-line block ×7, first 2 shown]
	v_fma_f16 v100, v6, s16, -v131
	v_add_f16_e32 v100, v4, v100
	v_fma_f16 v108, v14, s14, -v133
	v_add_f16_e32 v100, v108, v100
	v_fma_f16 v108, v13, s6, -v134
	v_add_f16_e32 v100, v108, v100
	v_fma_f16 v108, v16, s17, -v135
	v_add_f16_e32 v100, v108, v100
	v_fma_f16 v108, v12, s15, -v136
	v_add_f16_e32 v100, v108, v100
	v_fma_f16 v108, v22, s7, -v137
	v_add_f16_e32 v100, v108, v100
	v_fma_f16 v108, v18, s19, -v138
	v_add_f16_e32 v100, v108, v100
	v_fma_f16 v108, v8, s13, -v139
	v_add_f16_e32 v100, v108, v100
	v_pack_b32_f16 v91, v100, v91
	v_pack_b32_f16 v50, v82, v50
	v_fma_f16 v41, v5, s24, v41
	ds_write2_b32 v39, v50, v91 offset0:10 offset1:11
	v_add_f16_sdwa v41, v4, v41 dst_sel:DWORD dst_unused:UNUSED_PAD src0_sel:WORD_1 src1_sel:DWORD
	v_fma_f16 v50, v15, s27, v59
	v_add_f16_e32 v41, v50, v41
	v_fma_f16 v50, v9, s31, v68
	v_add_f16_e32 v41, v50, v41
	v_fma_f16 v50, v17, s22, v76
	v_add_f16_e32 v41, v50, v41
	v_fma_f16 v50, v24, s21, v77
	v_add_f16_e32 v41, v50, v41
	v_fma_f16 v50, v23, s33, v78
	v_add_f16_e32 v41, v50, v41
	v_fma_f16 v50, v19, s11, v79
	v_add_f16_e32 v41, v50, v41
	v_fma_f16 v50, v7, s20, v80
	v_add_f16_e32 v41, v50, v41
	v_fma_f16 v50, v6, s14, -v81
	v_add_f16_e32 v50, v4, v50
	v_fma_f16 v59, v14, s17, -v83
	v_add_f16_e32 v50, v59, v50
	;; [unrolled: 2-line block ×8, first 2 shown]
	v_fma_f16 v59, v5, s18, v90
	v_add_f16_sdwa v59, v4, v59 dst_sel:DWORD dst_unused:UNUSED_PAD src0_sel:WORD_1 src1_sel:DWORD
	v_fma_f16 v68, v15, s21, v92
	v_add_f16_e32 v59, v68, v59
	v_fma_f16 v68, v9, s28, v93
	v_add_f16_e32 v59, v68, v59
	;; [unrolled: 2-line block ×7, first 2 shown]
	v_fma_f16 v68, v6, s15, -v99
	v_add_f16_e32 v68, v4, v68
	v_fma_f16 v76, v14, s19, -v101
	v_add_f16_e32 v68, v76, v68
	;; [unrolled: 2-line block ×8, first 2 shown]
	v_pack_b32_f16 v59, v68, v59
	v_pack_b32_f16 v41, v50, v41
	v_fma_f16 v40, v5, s22, v40
	ds_write2_b32 v39, v41, v59 offset0:12 offset1:13
	v_add_f16_sdwa v40, v4, v40 dst_sel:DWORD dst_unused:UNUSED_PAD src0_sel:WORD_1 src1_sel:DWORD
	v_fma_f16 v41, v15, s20, v42
	v_fma_f16 v5, v5, s10, v58
	v_add_f16_e32 v40, v41, v40
	v_fma_f16 v41, v9, s30, v43
	v_fma_f16 v15, v15, s18, v60
	v_add_f16_sdwa v5, v4, v5 dst_sel:DWORD dst_unused:UNUSED_PAD src0_sel:WORD_1 src1_sel:DWORD
	v_add_f16_e32 v40, v41, v40
	v_fma_f16 v41, v17, s28, v44
	v_add_f16_e32 v5, v15, v5
	v_fma_f16 v9, v9, s20, v61
	;; [unrolled: 2-line block ×10, first 2 shown]
	v_add_f16_e32 v40, v41, v40
	v_fma_f16 v41, v6, s13, -v49
	v_add_f16_e32 v5, v9, v5
	v_fma_f16 v7, v7, s26, v66
	v_fma_f16 v6, v6, s7, -v67
	v_add_f16_e32 v41, v4, v41
	v_fma_f16 v42, v14, s16, -v51
	v_add_f16_e32 v5, v7, v5
	;; [unrolled: 2-line block ×3, first 2 shown]
	v_add_f16_e32 v41, v42, v41
	v_fma_f16 v42, v13, s19, -v52
	v_add_f16_e32 v6, v7, v6
	v_fma_f16 v7, v13, s16, -v70
	;; [unrolled: 2-line block ×12, first 2 shown]
	v_add_f16_e32 v41, v42, v41
	v_add_f16_e32 v6, v7, v6
	v_pack_b32_f16 v5, v6, v5
	v_pack_b32_f16 v6, v41, v40
	ds_write2_b32 v39, v6, v5 offset0:14 offset1:15
	v_bfi_b32 v5, s12, v11, v10
	v_pk_add_f16 v4, v4, v5
	v_bfi_b32 v5, s12, v26, v25
	v_pk_add_f16 v4, v5, v4
	;; [unrolled: 2-line block ×8, first 2 shown]
	ds_write_b32 v39, v4 offset:64
.LBB0_19:
	s_or_b64 exec, exec, s[4:5]
	s_movk_i32 s4, 0xf1
	v_mul_lo_u16_sdwa v4, v0, s4 dst_sel:DWORD dst_unused:UNUSED_PAD src0_sel:BYTE_0 src1_sel:DWORD
	v_lshrrev_b16_e32 v26, 12, v4
	v_mul_lo_u16_e32 v4, 17, v26
	v_sub_u16_e32 v27, v0, v4
	v_mov_b32_e32 v4, 9
	v_mul_u32_u24_sdwa v4, v27, v4 dst_sel:DWORD dst_unused:UNUSED_PAD src0_sel:BYTE_0 src1_sel:DWORD
	v_lshlrev_b32_e32 v4, 2, v4
	s_waitcnt lgkmcnt(0)
	s_barrier
	global_load_dwordx4 v[6:9], v4, s[8:9]
	global_load_dwordx4 v[10:13], v4, s[8:9] offset:16
	global_load_dword v28, v4, s[8:9] offset:32
	v_add_u32_e32 v5, 0xa00, v20
	ds_read2_b32 v[14:15], v20 offset1:170
	ds_read2_b32 v[16:17], v1 offset0:84 offset1:254
	v_add_u32_e32 v4, 0xf00, v20
	ds_read2_b32 v[18:19], v21 offset0:80 offset1:250
	ds_read2_b32 v[22:23], v5 offset0:40 offset1:210
	;; [unrolled: 1-line block ×3, first 2 shown]
	s_waitcnt lgkmcnt(4)
	v_lshrrev_b32_e32 v32, 16, v15
	s_waitcnt lgkmcnt(3)
	v_lshrrev_b32_e32 v33, 16, v16
	v_lshrrev_b32_e32 v34, 16, v17
	s_waitcnt lgkmcnt(1)
	v_lshrrev_b32_e32 v37, 16, v22
	s_waitcnt lgkmcnt(0)
	v_lshrrev_b32_e32 v35, 16, v24
	v_lshrrev_b32_e32 v30, 16, v18
	;; [unrolled: 1-line block ×4, first 2 shown]
	s_mov_b32 s10, 0xbb9c
	s_movk_i32 s5, 0x3b9c
	s_mov_b32 s7, 0xb8b4
	s_movk_i32 s4, 0x38b4
	s_movk_i32 s6, 0x34f2
	v_lshrrev_b32_e32 v29, 16, v14
	v_lshrrev_b32_e32 v38, 16, v23
	s_mov_b32 s13, 0xba79
	s_movk_i32 s11, 0x3a79
	s_mov_b32 s12, 0xb4f2
	s_waitcnt vmcnt(0)
	s_barrier
	v_mul_f16_sdwa v45, v9, v37 dst_sel:DWORD dst_unused:UNUSED_PAD src0_sel:WORD_1 src1_sel:DWORD
	v_mul_f16_sdwa v49, v35, v11 dst_sel:DWORD dst_unused:UNUSED_PAD src0_sel:DWORD src1_sel:WORD_1
	v_mul_f16_sdwa v41, v7, v33 dst_sel:DWORD dst_unused:UNUSED_PAD src0_sel:WORD_1 src1_sel:DWORD
	v_mul_f16_sdwa v42, v7, v16 dst_sel:DWORD dst_unused:UNUSED_PAD src0_sel:WORD_1 src1_sel:DWORD
	;; [unrolled: 1-line block ×3, first 2 shown]
	v_mul_f16_sdwa v50, v24, v11 dst_sel:DWORD dst_unused:UNUSED_PAD src0_sel:DWORD src1_sel:WORD_1
	v_mul_f16_sdwa v53, v30, v13 dst_sel:DWORD dst_unused:UNUSED_PAD src0_sel:DWORD src1_sel:WORD_1
	v_mul_f16_sdwa v54, v18, v13 dst_sel:DWORD dst_unused:UNUSED_PAD src0_sel:DWORD src1_sel:WORD_1
	v_mul_f16_sdwa v55, v31, v28 dst_sel:DWORD dst_unused:UNUSED_PAD src0_sel:DWORD src1_sel:WORD_1
	v_mul_f16_sdwa v56, v19, v28 dst_sel:DWORD dst_unused:UNUSED_PAD src0_sel:DWORD src1_sel:WORD_1
	v_fma_f16 v22, v9, v22, v45
	v_fma_f16 v24, v24, v11, v49
	v_mul_f16_sdwa v39, v6, v32 dst_sel:DWORD dst_unused:UNUSED_PAD src0_sel:WORD_1 src1_sel:DWORD
	v_mul_f16_sdwa v40, v6, v15 dst_sel:DWORD dst_unused:UNUSED_PAD src0_sel:WORD_1 src1_sel:DWORD
	;; [unrolled: 1-line block ×4, first 2 shown]
	v_fma_f16 v16, v7, v16, v41
	v_fma_f16 v7, v7, v33, -v42
	v_fma_f16 v18, v18, v13, v53
	v_fma_f16 v13, v30, v13, -v54
	;; [unrolled: 2-line block ×3, first 2 shown]
	v_add_f16_e32 v31, v22, v24
	v_mul_f16_sdwa v51, v36, v12 dst_sel:DWORD dst_unused:UNUSED_PAD src0_sel:DWORD src1_sel:WORD_1
	v_mul_f16_sdwa v52, v25, v12 dst_sel:DWORD dst_unused:UNUSED_PAD src0_sel:DWORD src1_sel:WORD_1
	v_fma_f16 v15, v6, v15, v39
	v_fma_f16 v6, v6, v32, -v40
	v_fma_f16 v17, v8, v17, v43
	v_fma_f16 v8, v8, v34, -v44
	v_fma_f16 v9, v9, v37, -v46
	;; [unrolled: 1-line block ×3, first 2 shown]
	v_sub_f16_e32 v32, v7, v13
	v_sub_f16_e32 v34, v16, v22
	;; [unrolled: 1-line block ×3, first 2 shown]
	v_fma_f16 v31, v31, -0.5, v14
	v_fma_f16 v25, v25, v12, v51
	v_fma_f16 v12, v36, v12, -v52
	v_sub_f16_e32 v33, v9, v11
	v_add_f16_e32 v36, v16, v18
	v_add_f16_e32 v34, v34, v35
	v_fma_f16 v35, v32, s10, v31
	v_fma_f16 v31, v32, s5, v31
	v_add_f16_e32 v30, v14, v16
	v_fma_f16 v14, v36, -0.5, v14
	v_fma_f16 v35, v33, s7, v35
	v_fma_f16 v31, v33, s4, v31
	v_sub_f16_e32 v37, v22, v16
	v_add_f16_e32 v30, v30, v22
	v_fma_f16 v36, v33, s5, v14
	v_fma_f16 v35, v34, s6, v35
	;; [unrolled: 1-line block ×3, first 2 shown]
	v_sub_f16_e32 v34, v24, v18
	v_fma_f16 v14, v33, s10, v14
	v_add_f16_e32 v33, v9, v11
	v_add_f16_e32 v30, v30, v24
	v_fma_f16 v36, v32, s7, v36
	v_add_f16_e32 v34, v37, v34
	v_fma_f16 v14, v32, s4, v14
	v_fma_f16 v33, v33, -0.5, v29
	v_sub_f16_e32 v16, v16, v18
	v_add_f16_e32 v30, v30, v18
	v_fma_f16 v36, v34, s6, v36
	v_fma_f16 v14, v34, s6, v14
	;; [unrolled: 1-line block ×3, first 2 shown]
	v_sub_f16_e32 v22, v22, v24
	v_sub_f16_e32 v24, v7, v9
	;; [unrolled: 1-line block ×3, first 2 shown]
	v_fma_f16 v33, v16, s10, v33
	v_add_f16_e32 v32, v29, v7
	v_fma_f16 v18, v22, s4, v18
	v_add_f16_e32 v24, v24, v34
	v_fma_f16 v33, v22, s7, v33
	v_mul_f16_sdwa v47, v10, v38 dst_sel:DWORD dst_unused:UNUSED_PAD src0_sel:WORD_1 src1_sel:DWORD
	v_add_f16_e32 v32, v32, v9
	v_fma_f16 v18, v24, s6, v18
	v_fma_f16 v24, v24, s6, v33
	v_add_f16_e32 v33, v7, v13
	v_mul_f16_sdwa v48, v10, v23 dst_sel:DWORD dst_unused:UNUSED_PAD src0_sel:WORD_1 src1_sel:DWORD
	v_fma_f16 v23, v10, v23, v47
	v_add_f16_e32 v32, v32, v11
	v_fma_f16 v29, v33, -0.5, v29
	v_add_f16_e32 v32, v32, v13
	v_fma_f16 v33, v22, s10, v29
	v_sub_f16_e32 v7, v9, v7
	v_sub_f16_e32 v9, v11, v13
	v_fma_f16 v11, v22, s5, v29
	v_add_f16_e32 v13, v23, v25
	v_fma_f16 v10, v10, v38, -v48
	v_fma_f16 v33, v16, s4, v33
	v_add_f16_e32 v7, v7, v9
	v_fma_f16 v11, v16, s7, v11
	v_fma_f16 v13, v13, -0.5, v15
	v_sub_f16_e32 v16, v8, v28
	v_fma_f16 v9, v7, s6, v33
	v_fma_f16 v22, v16, s10, v13
	v_sub_f16_e32 v29, v10, v12
	v_sub_f16_e32 v33, v17, v23
	;; [unrolled: 1-line block ×3, first 2 shown]
	v_fma_f16 v13, v16, s5, v13
	v_fma_f16 v22, v29, s7, v22
	v_add_f16_e32 v33, v33, v34
	v_fma_f16 v13, v29, s4, v13
	v_fma_f16 v22, v33, s6, v22
	;; [unrolled: 1-line block ×3, first 2 shown]
	v_add_f16_e32 v33, v17, v19
	v_fma_f16 v7, v7, s6, v11
	v_add_f16_e32 v11, v15, v17
	v_fma_f16 v15, v33, -0.5, v15
	v_add_f16_e32 v11, v11, v23
	v_fma_f16 v33, v29, s5, v15
	v_sub_f16_e32 v34, v23, v17
	v_sub_f16_e32 v37, v25, v19
	v_fma_f16 v15, v29, s10, v15
	v_add_f16_e32 v29, v10, v12
	v_add_f16_e32 v11, v11, v25
	v_fma_f16 v33, v16, s7, v33
	v_add_f16_e32 v34, v34, v37
	v_fma_f16 v15, v16, s4, v15
	v_fma_f16 v29, v29, -0.5, v6
	v_sub_f16_e32 v17, v17, v19
	v_add_f16_e32 v11, v11, v19
	v_fma_f16 v33, v34, s6, v33
	v_fma_f16 v15, v34, s6, v15
	;; [unrolled: 1-line block ×3, first 2 shown]
	v_sub_f16_e32 v23, v23, v25
	v_sub_f16_e32 v25, v8, v10
	v_sub_f16_e32 v34, v28, v12
	v_fma_f16 v29, v17, s10, v29
	v_fma_f16 v19, v23, s4, v19
	v_add_f16_e32 v25, v25, v34
	v_fma_f16 v29, v23, s7, v29
	v_fma_f16 v19, v25, s6, v19
	;; [unrolled: 1-line block ×3, first 2 shown]
	v_add_f16_e32 v29, v8, v28
	v_add_f16_e32 v16, v6, v8
	v_fma_f16 v6, v29, -0.5, v6
	v_add_f16_e32 v16, v16, v10
	v_fma_f16 v29, v23, s10, v6
	v_sub_f16_e32 v8, v10, v8
	v_sub_f16_e32 v10, v12, v28
	v_fma_f16 v6, v23, s5, v6
	v_add_f16_e32 v8, v8, v10
	v_fma_f16 v6, v17, s7, v6
	v_fma_f16 v29, v17, s4, v29
	;; [unrolled: 1-line block ×4, first 2 shown]
	v_mul_f16_e32 v29, 0xbb9c, v6
	v_mul_f16_e32 v37, 0xb8b4, v25
	;; [unrolled: 1-line block ×4, first 2 shown]
	v_add_f16_e32 v16, v16, v12
	v_mul_f16_e32 v12, 0xb8b4, v19
	v_mul_f16_e32 v23, 0xbb9c, v10
	v_fma_f16 v37, v13, s13, v37
	v_mul_f16_e32 v19, 0x3a79, v19
	v_mul_f16_e32 v10, 0x34f2, v10
	v_fma_f16 v6, v15, s5, v6
	v_fma_f16 v13, v13, s4, v25
	v_add_f16_e32 v16, v16, v28
	v_fma_f16 v12, v22, s11, v12
	v_fma_f16 v29, v15, s12, v29
	;; [unrolled: 1-line block ×4, first 2 shown]
	v_add_f16_e32 v15, v7, v6
	v_add_f16_e32 v25, v24, v13
	v_sub_f16_e32 v6, v7, v6
	v_sub_f16_e32 v7, v24, v13
	v_mov_b32_e32 v13, 2
	v_add_f16_e32 v8, v30, v11
	v_add_f16_e32 v17, v35, v12
	v_fma_f16 v23, v33, s6, v23
	v_add_f16_e32 v39, v32, v16
	v_add_f16_e32 v22, v18, v19
	v_add_f16_e32 v33, v9, v10
	v_sub_f16_e32 v9, v9, v10
	v_mul_u32_u24_e32 v10, 0x2a8, v26
	v_lshlrev_b32_sdwa v13, v13, v27 dst_sel:DWORD dst_unused:UNUSED_PAD src0_sel:DWORD src1_sel:BYTE_0
	v_add_f16_e32 v28, v36, v23
	v_add_f16_e32 v34, v14, v29
	v_sub_f16_e32 v14, v14, v29
	v_sub_f16_e32 v29, v31, v37
	v_add3_u32 v10, 0, v10, v13
	v_pack_b32_f16 v8, v8, v39
	v_pack_b32_f16 v13, v17, v22
	v_add_f16_e32 v38, v31, v37
	v_sub_f16_e32 v11, v30, v11
	v_sub_f16_e32 v16, v32, v16
	ds_write2_b32 v10, v8, v13 offset1:17
	v_pack_b32_f16 v8, v28, v33
	v_pack_b32_f16 v13, v34, v15
	;; [unrolled: 1-line block ×4, first 2 shown]
	v_sub_f16_e32 v12, v35, v12
	v_sub_f16_e32 v23, v36, v23
	v_sub_f16_e32 v18, v18, v19
	ds_write2_b32 v10, v8, v13 offset0:34 offset1:51
	v_pack_b32_f16 v8, v38, v25
	v_pack_b32_f16 v11, v11, v16
	ds_write2_b32 v10, v6, v7 offset0:136 offset1:153
	v_mul_u32_u24_e32 v6, 9, v0
	ds_write2_b32 v10, v8, v11 offset0:68 offset1:85
	v_pack_b32_f16 v8, v12, v18
	v_pack_b32_f16 v9, v23, v9
	v_lshlrev_b32_e32 v14, 2, v6
	ds_write2_b32 v10, v8, v9 offset0:102 offset1:119
	s_waitcnt lgkmcnt(0)
	s_barrier
	global_load_dwordx4 v[6:9], v14, s[8:9] offset:612
	global_load_dwordx4 v[10:13], v14, s[8:9] offset:628
	global_load_dword v26, v14, s[8:9] offset:644
	ds_read2_b32 v[14:15], v20 offset1:170
	ds_read2_b32 v[16:17], v4 offset0:60 offset1:230
	ds_read2_b32 v[18:19], v21 offset0:80 offset1:250
	;; [unrolled: 1-line block ×4, first 2 shown]
	s_waitcnt vmcnt(0) lgkmcnt(0)
	s_barrier
	v_lshrrev_b32_e32 v32, 16, v15
	v_lshrrev_b32_e32 v28, 16, v16
	;; [unrolled: 1-line block ×6, first 2 shown]
	v_mul_f16_sdwa v33, v6, v32 dst_sel:DWORD dst_unused:UNUSED_PAD src0_sel:WORD_1 src1_sel:DWORD
	v_fma_f16 v33, v6, v15, v33
	v_mul_f16_sdwa v15, v6, v15 dst_sel:DWORD dst_unused:UNUSED_PAD src0_sel:WORD_1 src1_sel:DWORD
	v_fma_f16 v6, v6, v32, -v15
	v_lshrrev_b32_e32 v15, 16, v22
	v_mul_f16_sdwa v32, v7, v15 dst_sel:DWORD dst_unused:UNUSED_PAD src0_sel:WORD_1 src1_sel:DWORD
	v_fma_f16 v32, v7, v22, v32
	v_mul_f16_sdwa v22, v7, v22 dst_sel:DWORD dst_unused:UNUSED_PAD src0_sel:WORD_1 src1_sel:DWORD
	v_fma_f16 v7, v7, v15, -v22
	v_lshrrev_b32_e32 v15, 16, v23
	;; [unrolled: 5-line block ×4, first 2 shown]
	v_mul_f16_sdwa v24, v10, v15 dst_sel:DWORD dst_unused:UNUSED_PAD src0_sel:WORD_1 src1_sel:DWORD
	v_fma_f16 v24, v10, v25, v24
	v_mul_f16_sdwa v25, v10, v25 dst_sel:DWORD dst_unused:UNUSED_PAD src0_sel:WORD_1 src1_sel:DWORD
	v_fma_f16 v10, v10, v15, -v25
	v_mul_f16_sdwa v15, v28, v11 dst_sel:DWORD dst_unused:UNUSED_PAD src0_sel:DWORD src1_sel:WORD_1
	v_fma_f16 v15, v16, v11, v15
	v_mul_f16_sdwa v16, v16, v11 dst_sel:DWORD dst_unused:UNUSED_PAD src0_sel:DWORD src1_sel:WORD_1
	v_fma_f16 v11, v28, v11, -v16
	v_mul_f16_sdwa v16, v29, v12 dst_sel:DWORD dst_unused:UNUSED_PAD src0_sel:DWORD src1_sel:WORD_1
	v_fma_f16 v16, v17, v12, v16
	v_mul_f16_sdwa v17, v17, v12 dst_sel:DWORD dst_unused:UNUSED_PAD src0_sel:DWORD src1_sel:WORD_1
	;; [unrolled: 4-line block ×4, first 2 shown]
	v_fma_f16 v19, v31, v26, -v19
	v_add_f16_e32 v26, v23, v15
	v_fma_f16 v26, v26, -0.5, v14
	v_sub_f16_e32 v28, v7, v13
	v_fma_f16 v29, v28, s10, v26
	v_sub_f16_e32 v30, v9, v11
	v_sub_f16_e32 v31, v32, v23
	;; [unrolled: 1-line block ×3, first 2 shown]
	v_fma_f16 v26, v28, s5, v26
	v_fma_f16 v29, v30, s7, v29
	v_add_f16_e32 v31, v31, v34
	v_fma_f16 v26, v30, s4, v26
	v_add_f16_e32 v25, v14, v32
	v_fma_f16 v29, v31, s6, v29
	v_fma_f16 v26, v31, s6, v26
	v_add_f16_e32 v31, v32, v17
	v_add_f16_e32 v25, v25, v23
	v_fma_f16 v14, v31, -0.5, v14
	v_add_f16_e32 v25, v25, v15
	v_fma_f16 v31, v30, s5, v14
	v_fma_f16 v14, v30, s10, v14
	v_add_f16_e32 v30, v9, v11
	v_add_f16_e32 v25, v25, v17
	v_sub_f16_e32 v34, v23, v32
	v_sub_f16_e32 v35, v15, v17
	v_fma_f16 v30, v30, -0.5, v27
	v_sub_f16_e32 v17, v32, v17
	v_fma_f16 v31, v28, s7, v31
	v_add_f16_e32 v34, v34, v35
	v_fma_f16 v14, v28, s4, v14
	v_fma_f16 v32, v17, s5, v30
	v_sub_f16_e32 v15, v23, v15
	v_fma_f16 v31, v34, s6, v31
	v_fma_f16 v14, v34, s6, v14
	;; [unrolled: 1-line block ×3, first 2 shown]
	v_sub_f16_e32 v32, v7, v9
	v_sub_f16_e32 v34, v13, v11
	v_fma_f16 v30, v17, s10, v30
	v_add_f16_e32 v28, v27, v7
	v_add_f16_e32 v32, v32, v34
	v_fma_f16 v30, v15, s7, v30
	v_add_f16_e32 v28, v28, v9
	v_fma_f16 v23, v32, s6, v23
	v_fma_f16 v30, v32, s6, v30
	v_add_f16_e32 v32, v7, v13
	v_add_f16_e32 v28, v28, v11
	v_fma_f16 v27, v32, -0.5, v27
	v_add_f16_e32 v28, v28, v13
	v_fma_f16 v32, v15, s10, v27
	v_sub_f16_e32 v7, v9, v7
	v_sub_f16_e32 v9, v11, v13
	v_add_f16_e32 v13, v24, v16
	v_fma_f16 v32, v17, s4, v32
	v_add_f16_e32 v7, v7, v9
	v_fma_f16 v11, v15, s5, v27
	v_fma_f16 v13, v13, -0.5, v33
	v_sub_f16_e32 v15, v8, v19
	v_fma_f16 v9, v7, s6, v32
	v_fma_f16 v11, v17, s7, v11
	;; [unrolled: 1-line block ×3, first 2 shown]
	v_sub_f16_e32 v27, v10, v12
	v_sub_f16_e32 v32, v22, v24
	;; [unrolled: 1-line block ×3, first 2 shown]
	v_fma_f16 v13, v15, s5, v13
	v_fma_f16 v17, v27, s7, v17
	v_add_f16_e32 v32, v32, v34
	v_fma_f16 v13, v27, s4, v13
	v_fma_f16 v7, v7, s6, v11
	v_add_f16_e32 v11, v33, v22
	;; [unrolled: 3-line block ×3, first 2 shown]
	v_add_f16_e32 v11, v11, v24
	v_fma_f16 v32, v32, -0.5, v33
	v_add_f16_e32 v11, v11, v16
	v_fma_f16 v33, v27, s5, v32
	v_sub_f16_e32 v34, v24, v22
	v_sub_f16_e32 v35, v16, v18
	v_fma_f16 v27, v27, s10, v32
	v_add_f16_e32 v32, v10, v12
	v_add_f16_e32 v11, v11, v18
	v_fma_f16 v33, v15, s7, v33
	v_add_f16_e32 v34, v34, v35
	v_fma_f16 v15, v15, s4, v27
	v_fma_f16 v32, v32, -0.5, v6
	v_sub_f16_e32 v18, v22, v18
	v_fma_f16 v33, v34, s6, v33
	v_fma_f16 v15, v34, s6, v15
	;; [unrolled: 1-line block ×3, first 2 shown]
	v_sub_f16_e32 v16, v24, v16
	v_sub_f16_e32 v24, v8, v10
	;; [unrolled: 1-line block ×3, first 2 shown]
	v_fma_f16 v32, v18, s10, v32
	v_fma_f16 v22, v16, s4, v22
	v_add_f16_e32 v24, v24, v34
	v_fma_f16 v32, v16, s7, v32
	v_fma_f16 v22, v24, s6, v22
	;; [unrolled: 1-line block ×3, first 2 shown]
	v_add_f16_e32 v32, v8, v19
	v_add_f16_e32 v27, v6, v8
	v_fma_f16 v6, v32, -0.5, v6
	v_add_f16_e32 v27, v27, v10
	v_fma_f16 v32, v16, s10, v6
	v_sub_f16_e32 v8, v10, v8
	v_sub_f16_e32 v10, v12, v19
	v_fma_f16 v6, v16, s5, v6
	v_fma_f16 v32, v18, s4, v32
	v_add_f16_e32 v8, v8, v10
	v_fma_f16 v6, v18, s7, v6
	v_add_f16_e32 v27, v27, v12
	v_fma_f16 v10, v8, s6, v32
	v_fma_f16 v6, v8, s6, v6
	v_mul_f16_e32 v12, 0xb8b4, v22
	v_mul_f16_e32 v22, 0x3a79, v22
	v_add_f16_e32 v27, v27, v19
	v_fma_f16 v12, v17, s11, v12
	v_mul_f16_e32 v18, 0xbb9c, v10
	v_mul_f16_e32 v32, 0xbb9c, v6
	v_fma_f16 v17, v17, s4, v22
	v_mul_f16_e32 v10, 0x34f2, v10
	v_mul_f16_e32 v6, 0xb4f2, v6
	v_add_f16_e32 v8, v25, v11
	v_add_f16_e32 v16, v29, v12
	v_fma_f16 v18, v33, s6, v18
	v_fma_f16 v32, v15, s12, v32
	v_mul_f16_e32 v35, 0xb8b4, v24
	v_add_f16_e32 v37, v28, v27
	v_add_f16_e32 v22, v23, v17
	v_fma_f16 v10, v33, s5, v10
	v_fma_f16 v6, v15, s5, v6
	v_mul_f16_e32 v24, 0xba79, v24
	v_add_f16_e32 v19, v31, v18
	v_add_f16_e32 v34, v14, v32
	v_fma_f16 v35, v13, s13, v35
	v_add_f16_e32 v33, v9, v10
	v_add_f16_e32 v15, v7, v6
	v_fma_f16 v13, v13, s4, v24
	v_sub_f16_e32 v9, v9, v10
	v_pack_b32_f16 v8, v8, v37
	v_pack_b32_f16 v10, v16, v22
	v_add_f16_e32 v36, v26, v35
	v_add_f16_e32 v24, v30, v13
	v_sub_f16_e32 v11, v25, v11
	v_sub_f16_e32 v25, v26, v35
	;; [unrolled: 1-line block ×3, first 2 shown]
	ds_write2_b32 v20, v8, v10 offset1:170
	v_pack_b32_f16 v8, v19, v33
	v_pack_b32_f16 v10, v34, v15
	v_sub_f16_e32 v12, v29, v12
	v_sub_f16_e32 v18, v31, v18
	;; [unrolled: 1-line block ×3, first 2 shown]
	ds_write2_b32 v1, v8, v10 offset0:84 offset1:254
	v_pack_b32_f16 v1, v36, v24
	v_pack_b32_f16 v8, v11, v26
	v_sub_f16_e32 v14, v14, v32
	v_sub_f16_e32 v6, v7, v6
	v_sub_f16_e32 v7, v30, v13
	ds_write2_b32 v5, v1, v8 offset0:40 offset1:210
	v_pack_b32_f16 v1, v12, v17
	v_pack_b32_f16 v5, v18, v9
	ds_write2_b32 v4, v1, v5 offset0:60 offset1:230
	v_pack_b32_f16 v1, v14, v6
	v_pack_b32_f16 v4, v25, v7
	ds_write2_b32 v21, v1, v4 offset0:80 offset1:250
	s_waitcnt lgkmcnt(0)
	s_barrier
	s_and_saveexec_b64 s[4:5], s[0:1]
	s_cbranch_execz .LBB0_21
; %bb.20:
	v_lshl_add_u32 v6, v0, 2, 0
	v_mov_b32_e32 v1, 0
	ds_read2_b32 v[4:5], v6 offset1:170
	v_mov_b32_e32 v7, s3
	v_add_co_u32_e32 v8, vcc, s2, v2
	v_addc_co_u32_e32 v7, vcc, v7, v3, vcc
	v_lshlrev_b64 v[2:3], 2, v[0:1]
	v_add_co_u32_e32 v2, vcc, v8, v2
	v_addc_co_u32_e32 v3, vcc, v7, v3, vcc
	s_waitcnt lgkmcnt(0)
	global_store_dword v[2:3], v4, off
	v_add_u32_e32 v2, 0xaa, v0
	v_mov_b32_e32 v3, v1
	v_lshlrev_b64 v[2:3], 2, v[2:3]
	v_add_u32_e32 v4, 0x400, v6
	v_add_co_u32_e32 v2, vcc, v8, v2
	v_addc_co_u32_e32 v3, vcc, v7, v3, vcc
	global_store_dword v[2:3], v5, off
	v_add_u32_e32 v2, 0x154, v0
	v_mov_b32_e32 v3, v1
	ds_read2_b32 v[4:5], v4 offset0:84 offset1:254
	v_lshlrev_b64 v[2:3], 2, v[2:3]
	v_add_co_u32_e32 v2, vcc, v8, v2
	v_addc_co_u32_e32 v3, vcc, v7, v3, vcc
	s_waitcnt lgkmcnt(0)
	global_store_dword v[2:3], v4, off
	v_add_u32_e32 v2, 0x1fe, v0
	v_mov_b32_e32 v3, v1
	v_lshlrev_b64 v[2:3], 2, v[2:3]
	v_add_u32_e32 v4, 0xa00, v6
	v_add_co_u32_e32 v2, vcc, v8, v2
	v_addc_co_u32_e32 v3, vcc, v7, v3, vcc
	global_store_dword v[2:3], v5, off
	v_add_u32_e32 v2, 0x2a8, v0
	v_mov_b32_e32 v3, v1
	ds_read2_b32 v[4:5], v4 offset0:40 offset1:210
	;; [unrolled: 15-line block ×3, first 2 shown]
	v_lshlrev_b64 v[2:3], 2, v[2:3]
	v_add_co_u32_e32 v2, vcc, v8, v2
	v_addc_co_u32_e32 v3, vcc, v7, v3, vcc
	s_waitcnt lgkmcnt(0)
	global_store_dword v[2:3], v4, off
	v_add_u32_e32 v2, 0x4a6, v0
	v_mov_b32_e32 v3, v1
	v_lshlrev_b64 v[2:3], 2, v[2:3]
	v_add_u32_e32 v4, 0x1400, v6
	v_add_co_u32_e32 v2, vcc, v8, v2
	v_addc_co_u32_e32 v3, vcc, v7, v3, vcc
	global_store_dword v[2:3], v5, off
	v_add_u32_e32 v2, 0x550, v0
	v_mov_b32_e32 v3, v1
	v_lshlrev_b64 v[2:3], 2, v[2:3]
	ds_read2_b32 v[4:5], v4 offset0:80 offset1:250
	v_add_u32_e32 v0, 0x5fa, v0
	v_add_co_u32_e32 v2, vcc, v8, v2
	v_lshlrev_b64 v[0:1], 2, v[0:1]
	v_addc_co_u32_e32 v3, vcc, v7, v3, vcc
	v_add_co_u32_e32 v0, vcc, v8, v0
	v_addc_co_u32_e32 v1, vcc, v7, v1, vcc
	s_waitcnt lgkmcnt(0)
	global_store_dword v[2:3], v4, off
	global_store_dword v[0:1], v5, off
.LBB0_21:
	s_endpgm
	.section	.rodata,"a",@progbits
	.p2align	6, 0x0
	.amdhsa_kernel fft_rtc_back_len1700_factors_17_10_10_wgs_170_tpt_170_halfLds_half_ip_CI_unitstride_sbrr_C2R_dirReg
		.amdhsa_group_segment_fixed_size 0
		.amdhsa_private_segment_fixed_size 0
		.amdhsa_kernarg_size 88
		.amdhsa_user_sgpr_count 6
		.amdhsa_user_sgpr_private_segment_buffer 1
		.amdhsa_user_sgpr_dispatch_ptr 0
		.amdhsa_user_sgpr_queue_ptr 0
		.amdhsa_user_sgpr_kernarg_segment_ptr 1
		.amdhsa_user_sgpr_dispatch_id 0
		.amdhsa_user_sgpr_flat_scratch_init 0
		.amdhsa_user_sgpr_private_segment_size 0
		.amdhsa_uses_dynamic_stack 0
		.amdhsa_system_sgpr_private_segment_wavefront_offset 0
		.amdhsa_system_sgpr_workgroup_id_x 1
		.amdhsa_system_sgpr_workgroup_id_y 0
		.amdhsa_system_sgpr_workgroup_id_z 0
		.amdhsa_system_sgpr_workgroup_info 0
		.amdhsa_system_vgpr_workitem_id 0
		.amdhsa_next_free_vgpr 154
		.amdhsa_next_free_sgpr 34
		.amdhsa_reserve_vcc 1
		.amdhsa_reserve_flat_scratch 0
		.amdhsa_float_round_mode_32 0
		.amdhsa_float_round_mode_16_64 0
		.amdhsa_float_denorm_mode_32 3
		.amdhsa_float_denorm_mode_16_64 3
		.amdhsa_dx10_clamp 1
		.amdhsa_ieee_mode 1
		.amdhsa_fp16_overflow 0
		.amdhsa_exception_fp_ieee_invalid_op 0
		.amdhsa_exception_fp_denorm_src 0
		.amdhsa_exception_fp_ieee_div_zero 0
		.amdhsa_exception_fp_ieee_overflow 0
		.amdhsa_exception_fp_ieee_underflow 0
		.amdhsa_exception_fp_ieee_inexact 0
		.amdhsa_exception_int_div_zero 0
	.end_amdhsa_kernel
	.text
.Lfunc_end0:
	.size	fft_rtc_back_len1700_factors_17_10_10_wgs_170_tpt_170_halfLds_half_ip_CI_unitstride_sbrr_C2R_dirReg, .Lfunc_end0-fft_rtc_back_len1700_factors_17_10_10_wgs_170_tpt_170_halfLds_half_ip_CI_unitstride_sbrr_C2R_dirReg
                                        ; -- End function
	.section	.AMDGPU.csdata,"",@progbits
; Kernel info:
; codeLenInByte = 10628
; NumSgprs: 38
; NumVgprs: 154
; ScratchSize: 0
; MemoryBound: 0
; FloatMode: 240
; IeeeMode: 1
; LDSByteSize: 0 bytes/workgroup (compile time only)
; SGPRBlocks: 4
; VGPRBlocks: 38
; NumSGPRsForWavesPerEU: 38
; NumVGPRsForWavesPerEU: 154
; Occupancy: 1
; WaveLimiterHint : 1
; COMPUTE_PGM_RSRC2:SCRATCH_EN: 0
; COMPUTE_PGM_RSRC2:USER_SGPR: 6
; COMPUTE_PGM_RSRC2:TRAP_HANDLER: 0
; COMPUTE_PGM_RSRC2:TGID_X_EN: 1
; COMPUTE_PGM_RSRC2:TGID_Y_EN: 0
; COMPUTE_PGM_RSRC2:TGID_Z_EN: 0
; COMPUTE_PGM_RSRC2:TIDIG_COMP_CNT: 0
	.type	__hip_cuid_f39de724506d1f7a,@object ; @__hip_cuid_f39de724506d1f7a
	.section	.bss,"aw",@nobits
	.globl	__hip_cuid_f39de724506d1f7a
__hip_cuid_f39de724506d1f7a:
	.byte	0                               ; 0x0
	.size	__hip_cuid_f39de724506d1f7a, 1

	.ident	"AMD clang version 19.0.0git (https://github.com/RadeonOpenCompute/llvm-project roc-6.4.0 25133 c7fe45cf4b819c5991fe208aaa96edf142730f1d)"
	.section	".note.GNU-stack","",@progbits
	.addrsig
	.addrsig_sym __hip_cuid_f39de724506d1f7a
	.amdgpu_metadata
---
amdhsa.kernels:
  - .args:
      - .actual_access:  read_only
        .address_space:  global
        .offset:         0
        .size:           8
        .value_kind:     global_buffer
      - .offset:         8
        .size:           8
        .value_kind:     by_value
      - .actual_access:  read_only
        .address_space:  global
        .offset:         16
        .size:           8
        .value_kind:     global_buffer
      - .actual_access:  read_only
        .address_space:  global
        .offset:         24
        .size:           8
        .value_kind:     global_buffer
      - .offset:         32
        .size:           8
        .value_kind:     by_value
      - .actual_access:  read_only
        .address_space:  global
        .offset:         40
        .size:           8
        .value_kind:     global_buffer
      - .actual_access:  read_only
        .address_space:  global
        .offset:         48
        .size:           8
        .value_kind:     global_buffer
      - .offset:         56
        .size:           4
        .value_kind:     by_value
      - .actual_access:  read_only
        .address_space:  global
        .offset:         64
        .size:           8
        .value_kind:     global_buffer
      - .actual_access:  read_only
        .address_space:  global
        .offset:         72
        .size:           8
        .value_kind:     global_buffer
      - .address_space:  global
        .offset:         80
        .size:           8
        .value_kind:     global_buffer
    .group_segment_fixed_size: 0
    .kernarg_segment_align: 8
    .kernarg_segment_size: 88
    .language:       OpenCL C
    .language_version:
      - 2
      - 0
    .max_flat_workgroup_size: 170
    .name:           fft_rtc_back_len1700_factors_17_10_10_wgs_170_tpt_170_halfLds_half_ip_CI_unitstride_sbrr_C2R_dirReg
    .private_segment_fixed_size: 0
    .sgpr_count:     38
    .sgpr_spill_count: 0
    .symbol:         fft_rtc_back_len1700_factors_17_10_10_wgs_170_tpt_170_halfLds_half_ip_CI_unitstride_sbrr_C2R_dirReg.kd
    .uniform_work_group_size: 1
    .uses_dynamic_stack: false
    .vgpr_count:     154
    .vgpr_spill_count: 0
    .wavefront_size: 64
amdhsa.target:   amdgcn-amd-amdhsa--gfx906
amdhsa.version:
  - 1
  - 2
...

	.end_amdgpu_metadata
